;; amdgpu-corpus repo=ROCm/rocFFT kind=compiled arch=gfx906 opt=O3
	.text
	.amdgcn_target "amdgcn-amd-amdhsa--gfx906"
	.amdhsa_code_object_version 6
	.protected	fft_rtc_back_len245_factors_7_5_7_wgs_245_tpt_35_sp_ip_CI_sbrr_dirReg ; -- Begin function fft_rtc_back_len245_factors_7_5_7_wgs_245_tpt_35_sp_ip_CI_sbrr_dirReg
	.globl	fft_rtc_back_len245_factors_7_5_7_wgs_245_tpt_35_sp_ip_CI_sbrr_dirReg
	.p2align	8
	.type	fft_rtc_back_len245_factors_7_5_7_wgs_245_tpt_35_sp_ip_CI_sbrr_dirReg,@function
fft_rtc_back_len245_factors_7_5_7_wgs_245_tpt_35_sp_ip_CI_sbrr_dirReg: ; @fft_rtc_back_len245_factors_7_5_7_wgs_245_tpt_35_sp_ip_CI_sbrr_dirReg
; %bb.0:
	s_load_dwordx2 s[14:15], s[4:5], 0x18
	s_load_dwordx4 s[8:11], s[4:5], 0x0
	s_load_dwordx2 s[12:13], s[4:5], 0x50
	v_mul_u32_u24_e32 v1, 0x751, v0
	v_lshrrev_b32_e32 v1, 16, v1
	s_waitcnt lgkmcnt(0)
	s_load_dwordx2 s[2:3], s[14:15], 0x0
	v_mad_u64_u32 v[1:2], s[0:1], s6, 7, v[1:2]
	v_mov_b32_e32 v5, 0
	v_cmp_lt_u64_e64 s[0:1], s[10:11], 2
	v_mov_b32_e32 v2, v5
	v_mov_b32_e32 v3, 0
	;; [unrolled: 1-line block ×3, first 2 shown]
	s_and_b64 vcc, exec, s[0:1]
	v_mov_b32_e32 v4, 0
	v_mov_b32_e32 v9, v1
	s_cbranch_vccnz .LBB0_8
; %bb.1:
	s_load_dwordx2 s[0:1], s[4:5], 0x10
	s_add_u32 s6, s14, 8
	s_addc_u32 s7, s15, 0
	v_mov_b32_e32 v3, 0
	v_mov_b32_e32 v8, v2
	s_waitcnt lgkmcnt(0)
	s_add_u32 s18, s0, 8
	s_mov_b64 s[16:17], 1
	v_mov_b32_e32 v4, 0
	s_addc_u32 s19, s1, 0
	v_mov_b32_e32 v7, v1
.LBB0_2:                                ; =>This Inner Loop Header: Depth=1
	s_load_dwordx2 s[20:21], s[18:19], 0x0
                                        ; implicit-def: $vgpr9_vgpr10
	s_waitcnt lgkmcnt(0)
	v_or_b32_e32 v6, s21, v8
	v_cmp_ne_u64_e32 vcc, 0, v[5:6]
	s_and_saveexec_b64 s[0:1], vcc
	s_xor_b64 s[22:23], exec, s[0:1]
	s_cbranch_execz .LBB0_4
; %bb.3:                                ;   in Loop: Header=BB0_2 Depth=1
	v_cvt_f32_u32_e32 v2, s20
	v_cvt_f32_u32_e32 v6, s21
	s_sub_u32 s0, 0, s20
	s_subb_u32 s1, 0, s21
	v_mac_f32_e32 v2, 0x4f800000, v6
	v_rcp_f32_e32 v2, v2
	v_mul_f32_e32 v2, 0x5f7ffffc, v2
	v_mul_f32_e32 v6, 0x2f800000, v2
	v_trunc_f32_e32 v6, v6
	v_mac_f32_e32 v2, 0xcf800000, v6
	v_cvt_u32_f32_e32 v6, v6
	v_cvt_u32_f32_e32 v2, v2
	v_mul_lo_u32 v9, s0, v6
	v_mul_hi_u32 v10, s0, v2
	v_mul_lo_u32 v12, s1, v2
	v_mul_lo_u32 v11, s0, v2
	v_add_u32_e32 v9, v10, v9
	v_add_u32_e32 v9, v9, v12
	v_mul_hi_u32 v10, v2, v11
	v_mul_lo_u32 v12, v2, v9
	v_mul_hi_u32 v14, v2, v9
	v_mul_hi_u32 v13, v6, v11
	v_mul_lo_u32 v11, v6, v11
	v_mul_hi_u32 v15, v6, v9
	v_add_co_u32_e32 v10, vcc, v10, v12
	v_addc_co_u32_e32 v12, vcc, 0, v14, vcc
	v_mul_lo_u32 v9, v6, v9
	v_add_co_u32_e32 v10, vcc, v10, v11
	v_addc_co_u32_e32 v10, vcc, v12, v13, vcc
	v_addc_co_u32_e32 v11, vcc, 0, v15, vcc
	v_add_co_u32_e32 v9, vcc, v10, v9
	v_addc_co_u32_e32 v10, vcc, 0, v11, vcc
	v_add_co_u32_e32 v2, vcc, v2, v9
	v_addc_co_u32_e32 v6, vcc, v6, v10, vcc
	v_mul_lo_u32 v9, s0, v6
	v_mul_hi_u32 v10, s0, v2
	v_mul_lo_u32 v11, s1, v2
	v_mul_lo_u32 v12, s0, v2
	v_add_u32_e32 v9, v10, v9
	v_add_u32_e32 v9, v9, v11
	v_mul_lo_u32 v13, v2, v9
	v_mul_hi_u32 v14, v2, v12
	v_mul_hi_u32 v15, v2, v9
	;; [unrolled: 1-line block ×3, first 2 shown]
	v_mul_lo_u32 v12, v6, v12
	v_mul_hi_u32 v10, v6, v9
	v_add_co_u32_e32 v13, vcc, v14, v13
	v_addc_co_u32_e32 v14, vcc, 0, v15, vcc
	v_mul_lo_u32 v9, v6, v9
	v_add_co_u32_e32 v12, vcc, v13, v12
	v_addc_co_u32_e32 v11, vcc, v14, v11, vcc
	v_addc_co_u32_e32 v10, vcc, 0, v10, vcc
	v_add_co_u32_e32 v9, vcc, v11, v9
	v_addc_co_u32_e32 v10, vcc, 0, v10, vcc
	v_add_co_u32_e32 v2, vcc, v2, v9
	v_addc_co_u32_e32 v6, vcc, v6, v10, vcc
	v_mad_u64_u32 v[9:10], s[0:1], v7, v6, 0
	v_mul_hi_u32 v11, v7, v2
	v_add_co_u32_e32 v13, vcc, v11, v9
	v_addc_co_u32_e32 v14, vcc, 0, v10, vcc
	v_mad_u64_u32 v[9:10], s[0:1], v8, v2, 0
	v_mad_u64_u32 v[11:12], s[0:1], v8, v6, 0
	v_add_co_u32_e32 v2, vcc, v13, v9
	v_addc_co_u32_e32 v2, vcc, v14, v10, vcc
	v_addc_co_u32_e32 v6, vcc, 0, v12, vcc
	v_add_co_u32_e32 v2, vcc, v2, v11
	v_addc_co_u32_e32 v6, vcc, 0, v6, vcc
	v_mul_lo_u32 v11, s21, v2
	v_mul_lo_u32 v12, s20, v6
	v_mad_u64_u32 v[9:10], s[0:1], s20, v2, 0
	v_add3_u32 v10, v10, v12, v11
	v_sub_u32_e32 v11, v8, v10
	v_mov_b32_e32 v12, s21
	v_sub_co_u32_e32 v9, vcc, v7, v9
	v_subb_co_u32_e64 v11, s[0:1], v11, v12, vcc
	v_subrev_co_u32_e64 v12, s[0:1], s20, v9
	v_subbrev_co_u32_e64 v11, s[0:1], 0, v11, s[0:1]
	v_cmp_le_u32_e64 s[0:1], s21, v11
	v_cndmask_b32_e64 v13, 0, -1, s[0:1]
	v_cmp_le_u32_e64 s[0:1], s20, v12
	v_cndmask_b32_e64 v12, 0, -1, s[0:1]
	v_cmp_eq_u32_e64 s[0:1], s21, v11
	v_cndmask_b32_e64 v11, v13, v12, s[0:1]
	v_add_co_u32_e64 v12, s[0:1], 2, v2
	v_addc_co_u32_e64 v13, s[0:1], 0, v6, s[0:1]
	v_add_co_u32_e64 v14, s[0:1], 1, v2
	v_addc_co_u32_e64 v15, s[0:1], 0, v6, s[0:1]
	v_subb_co_u32_e32 v10, vcc, v8, v10, vcc
	v_cmp_ne_u32_e64 s[0:1], 0, v11
	v_cmp_le_u32_e32 vcc, s21, v10
	v_cndmask_b32_e64 v11, v15, v13, s[0:1]
	v_cndmask_b32_e64 v13, 0, -1, vcc
	v_cmp_le_u32_e32 vcc, s20, v9
	v_cndmask_b32_e64 v9, 0, -1, vcc
	v_cmp_eq_u32_e32 vcc, s21, v10
	v_cndmask_b32_e32 v9, v13, v9, vcc
	v_cmp_ne_u32_e32 vcc, 0, v9
	v_cndmask_b32_e32 v10, v6, v11, vcc
	v_cndmask_b32_e64 v6, v14, v12, s[0:1]
	v_cndmask_b32_e32 v9, v2, v6, vcc
.LBB0_4:                                ;   in Loop: Header=BB0_2 Depth=1
	s_andn2_saveexec_b64 s[0:1], s[22:23]
	s_cbranch_execz .LBB0_6
; %bb.5:                                ;   in Loop: Header=BB0_2 Depth=1
	v_cvt_f32_u32_e32 v2, s20
	s_sub_i32 s22, 0, s20
	v_rcp_iflag_f32_e32 v2, v2
	v_mul_f32_e32 v2, 0x4f7ffffe, v2
	v_cvt_u32_f32_e32 v2, v2
	v_mul_lo_u32 v6, s22, v2
	v_mul_hi_u32 v6, v2, v6
	v_add_u32_e32 v2, v2, v6
	v_mul_hi_u32 v2, v7, v2
	v_mul_lo_u32 v6, v2, s20
	v_add_u32_e32 v9, 1, v2
	v_sub_u32_e32 v6, v7, v6
	v_subrev_u32_e32 v10, s20, v6
	v_cmp_le_u32_e32 vcc, s20, v6
	v_cndmask_b32_e32 v6, v6, v10, vcc
	v_cndmask_b32_e32 v2, v2, v9, vcc
	v_add_u32_e32 v9, 1, v2
	v_cmp_le_u32_e32 vcc, s20, v6
	v_cndmask_b32_e32 v9, v2, v9, vcc
	v_mov_b32_e32 v10, v5
.LBB0_6:                                ;   in Loop: Header=BB0_2 Depth=1
	s_or_b64 exec, exec, s[0:1]
	v_mul_lo_u32 v2, v10, s20
	v_mul_lo_u32 v6, v9, s21
	v_mad_u64_u32 v[11:12], s[0:1], v9, s20, 0
	s_load_dwordx2 s[0:1], s[6:7], 0x0
	s_add_u32 s16, s16, 1
	v_add3_u32 v2, v12, v6, v2
	v_sub_co_u32_e32 v6, vcc, v7, v11
	v_subb_co_u32_e32 v2, vcc, v8, v2, vcc
	s_waitcnt lgkmcnt(0)
	v_mul_lo_u32 v2, s0, v2
	v_mul_lo_u32 v7, s1, v6
	v_mad_u64_u32 v[3:4], s[0:1], s0, v6, v[3:4]
	s_addc_u32 s17, s17, 0
	s_add_u32 s6, s6, 8
	v_add3_u32 v4, v7, v4, v2
	v_mov_b32_e32 v6, s10
	v_mov_b32_e32 v7, s11
	s_addc_u32 s7, s7, 0
	v_cmp_ge_u64_e32 vcc, s[16:17], v[6:7]
	s_add_u32 s18, s18, 8
	s_addc_u32 s19, s19, 0
	s_cbranch_vccnz .LBB0_8
; %bb.7:                                ;   in Loop: Header=BB0_2 Depth=1
	v_mov_b32_e32 v7, v9
	v_mov_b32_e32 v8, v10
	s_branch .LBB0_2
.LBB0_8:
	s_lshl_b64 s[0:1], s[10:11], 3
	s_add_u32 s0, s14, s0
	s_addc_u32 s1, s15, s1
	s_load_dwordx2 s[6:7], s[0:1], 0x0
	s_load_dwordx2 s[10:11], s[4:5], 0x20
	s_waitcnt lgkmcnt(0)
	v_mad_u64_u32 v[2:3], s[0:1], s6, v9, v[3:4]
	s_mov_b32 s0, 0x7507508
	v_mul_hi_u32 v4, v0, s0
	v_mul_lo_u32 v5, s6, v10
	v_mul_lo_u32 v6, s7, v9
	v_cmp_gt_u64_e32 vcc, s[10:11], v[9:10]
	v_mul_u32_u24_e32 v4, 35, v4
	v_cmp_le_u64_e64 s[0:1], s[10:11], v[9:10]
	v_sub_u32_e32 v23, v0, v4
	v_add3_u32 v3, v6, v3, v5
	v_add_u32_e32 v24, 35, v23
                                        ; implicit-def: $sgpr6_sgpr7
                                        ; implicit-def: $sgpr10
	s_and_saveexec_b64 s[4:5], s[0:1]
	s_xor_b64 s[0:1], exec, s[4:5]
; %bb.9:
	v_add_u32_e32 v24, 35, v23
	s_mov_b32 s10, 0
	s_mov_b64 s[6:7], 0
; %bb.10:
	s_or_saveexec_b64 s[4:5], s[0:1]
	v_mov_b32_e32 v6, s6
	v_lshlrev_b64 v[12:13], 3, v[2:3]
	v_mov_b32_e32 v15, s7
	v_mov_b32_e32 v11, s7
	;; [unrolled: 1-line block ×8, first 2 shown]
                                        ; implicit-def: $vgpr17
                                        ; implicit-def: $vgpr9
                                        ; implicit-def: $vgpr5
	s_xor_b64 exec, exec, s[4:5]
	s_cbranch_execz .LBB0_12
; %bb.11:
	v_mad_u64_u32 v[2:3], s[0:1], s2, v23, 0
	v_add_u32_e32 v8, 0x46, v23
	v_mov_b32_e32 v22, v23
	v_mov_b32_e32 v0, v3
	v_mad_u64_u32 v[3:4], s[0:1], s3, v23, v[0:1]
	v_mad_u64_u32 v[4:5], s[0:1], s2, v24, 0
	v_mov_b32_e32 v0, s13
	v_add_co_u32_e64 v10, s[0:1], s12, v12
	v_addc_co_u32_e64 v11, s[0:1], v0, v13, s[0:1]
	v_mov_b32_e32 v0, v5
	v_mad_u64_u32 v[5:6], s[0:1], s3, v24, v[0:1]
	v_mad_u64_u32 v[6:7], s[0:1], s2, v8, 0
	v_lshlrev_b64 v[2:3], 3, v[2:3]
	v_add_co_u32_e64 v18, s[0:1], v10, v2
	v_mov_b32_e32 v0, v7
	v_addc_co_u32_e64 v19, s[0:1], v11, v3, s[0:1]
	v_lshlrev_b64 v[2:3], 3, v[4:5]
	v_mad_u64_u32 v[4:5], s[0:1], s3, v8, v[0:1]
	v_add_u32_e32 v5, 0x69, v23
	v_mad_u64_u32 v[8:9], s[0:1], s2, v5, 0
	v_add_co_u32_e64 v20, s[0:1], v10, v2
	v_mov_b32_e32 v7, v4
	v_mov_b32_e32 v0, v9
	v_addc_co_u32_e64 v21, s[0:1], v11, v3, s[0:1]
	v_lshlrev_b64 v[2:3], 3, v[6:7]
	v_mad_u64_u32 v[4:5], s[0:1], s3, v5, v[0:1]
	v_add_u32_e32 v7, 0x8c, v23
	v_mad_u64_u32 v[5:6], s[0:1], s2, v7, 0
	v_add_co_u32_e64 v25, s[0:1], v10, v2
	v_mov_b32_e32 v0, v6
	v_addc_co_u32_e64 v26, s[0:1], v11, v3, s[0:1]
	v_mov_b32_e32 v9, v4
	v_mad_u64_u32 v[6:7], s[0:1], s3, v7, v[0:1]
	v_add_u32_e32 v4, 0xaf, v23
	v_lshlrev_b64 v[2:3], 3, v[8:9]
	v_mad_u64_u32 v[7:8], s[0:1], s2, v4, 0
	v_add_co_u32_e64 v27, s[0:1], v10, v2
	v_mov_b32_e32 v0, v8
	v_addc_co_u32_e64 v28, s[0:1], v11, v3, s[0:1]
	v_lshlrev_b64 v[2:3], 3, v[5:6]
	v_mad_u64_u32 v[4:5], s[0:1], s3, v4, v[0:1]
	v_add_u32_e32 v9, 0xd2, v23
	v_mad_u64_u32 v[5:6], s[0:1], s2, v9, 0
	v_add_co_u32_e64 v29, s[0:1], v10, v2
	v_mov_b32_e32 v8, v4
	v_mov_b32_e32 v0, v6
	v_addc_co_u32_e64 v30, s[0:1], v11, v3, s[0:1]
	v_lshlrev_b64 v[2:3], 3, v[7:8]
	v_mad_u64_u32 v[6:7], s[0:1], s3, v9, v[0:1]
	v_add_co_u32_e64 v31, s[0:1], v10, v2
	v_addc_co_u32_e64 v32, s[0:1], v11, v3, s[0:1]
	v_lshlrev_b64 v[2:3], 3, v[5:6]
	v_add_co_u32_e64 v33, s[0:1], v10, v2
	v_addc_co_u32_e64 v34, s[0:1], v11, v3, s[0:1]
	global_load_dwordx2 v[2:3], v[18:19], off
	global_load_dwordx2 v[6:7], v[20:21], off
	;; [unrolled: 1-line block ×7, first 2 shown]
.LBB0_12:
	s_or_b64 exec, exec, s[4:5]
	s_mov_b32 s0, 0x24924925
	v_mul_hi_u32 v0, v1, s0
	s_waitcnt vmcnt(0)
	v_add_f32_e32 v18, v16, v6
	v_sub_f32_e32 v6, v6, v16
	v_add_f32_e32 v19, v17, v7
	v_sub_u32_e32 v16, v1, v0
	v_lshrrev_b32_e32 v16, 1, v16
	v_add_u32_e32 v0, v16, v0
	v_lshrrev_b32_e32 v0, 2, v0
	v_mul_lo_u32 v0, v0, 7
	v_sub_f32_e32 v7, v7, v17
	v_add_f32_e32 v16, v8, v14
	v_add_f32_e32 v17, v9, v15
	v_sub_u32_e32 v0, v1, v0
	v_sub_f32_e32 v1, v14, v8
	v_sub_f32_e32 v8, v15, v9
	v_add_f32_e32 v9, v4, v10
	v_add_f32_e32 v14, v5, v11
	v_sub_f32_e32 v4, v10, v4
	v_sub_f32_e32 v5, v11, v5
	v_add_f32_e32 v10, v18, v16
	v_add_f32_e32 v11, v19, v17
	;; [unrolled: 1-line block ×4, first 2 shown]
	v_sub_f32_e32 v15, v16, v18
	v_sub_f32_e32 v18, v18, v9
	;; [unrolled: 1-line block ×6, first 2 shown]
	v_add_f32_e32 v17, v1, v4
	v_add_f32_e32 v2, v10, v2
	v_sub_f32_e32 v20, v4, v1
	v_sub_f32_e32 v4, v6, v4
	;; [unrolled: 1-line block ×3, first 2 shown]
	v_add_f32_e32 v6, v6, v17
	v_add_f32_e32 v17, v8, v5
	;; [unrolled: 1-line block ×3, first 2 shown]
	v_sub_f32_e32 v21, v5, v8
	v_sub_f32_e32 v5, v7, v5
	;; [unrolled: 1-line block ×3, first 2 shown]
	v_add_f32_e32 v7, v7, v17
	v_mov_b32_e32 v17, v2
	v_fmac_f32_e32 v17, 0xbf955555, v10
	v_mov_b32_e32 v10, v3
	v_mul_f32_e32 v9, 0x3d64c772, v9
	s_mov_b32 s0, 0x3f3bfb3b
	v_fmac_f32_e32 v10, 0xbf955555, v11
	v_fma_f32 v11, v15, s0, -v9
	v_fmac_f32_e32 v9, 0x3f4a47b2, v18
	v_mul_f32_e32 v18, 0x3f4a47b2, v18
	s_mov_b32 s1, 0xbf3bfb3b
	v_mul_f32_e32 v14, 0x3d64c772, v14
	v_fma_f32 v15, v15, s1, -v18
	v_fma_f32 v18, v16, s0, -v14
	v_fmac_f32_e32 v14, 0x3f4a47b2, v19
	v_mul_f32_e32 v19, 0x3f4a47b2, v19
	v_fma_f32 v16, v16, s1, -v19
	v_mul_f32_e32 v19, 0x3f08b237, v20
	s_mov_b32 s0, 0xbf5ff5aa
	v_mul_f32_e32 v20, 0xbf5ff5aa, v1
	s_mov_b32 s1, 0x3eae86e6
	v_fma_f32 v1, v1, s0, -v19
	v_fmac_f32_e32 v19, 0xbeae86e6, v4
	v_fma_f32 v20, v4, s1, -v20
	v_mul_f32_e32 v21, 0x3f08b237, v21
	v_mul_f32_e32 v4, 0xbf5ff5aa, v8
	v_add_f32_e32 v26, v9, v17
	v_add_f32_e32 v9, v11, v17
	;; [unrolled: 1-line block ×3, first 2 shown]
	v_mul_u32_u24_e32 v17, 0xf5, v0
	v_fma_f32 v8, v8, s0, -v21
	v_fmac_f32_e32 v21, 0xbeae86e6, v5
	v_fma_f32 v25, v5, s1, -v4
	v_add_f32_e32 v27, v14, v10
	v_add_f32_e32 v0, v18, v10
	;; [unrolled: 1-line block ×3, first 2 shown]
	v_lshl_add_u32 v16, v17, 3, 0
	v_fmac_f32_e32 v19, 0xbee1c552, v6
	v_fmac_f32_e32 v21, 0xbee1c552, v7
	;; [unrolled: 1-line block ×6, first 2 shown]
	v_mad_u32_u24 v18, v23, 56, v16
	s_movk_i32 s0, 0xffd0
	v_sub_f32_e32 v4, v9, v8
	v_add_f32_e32 v5, v1, v0
	v_add_f32_e32 v6, v9, v8
	v_sub_f32_e32 v7, v0, v1
	v_add_f32_e32 v8, v11, v25
	v_sub_f32_e32 v9, v10, v20
	v_sub_f32_e32 v14, v11, v25
	v_add_f32_e32 v15, v20, v10
	v_add_f32_e32 v10, v26, v21
	v_sub_f32_e32 v11, v27, v19
	v_sub_f32_e32 v0, v26, v21
	v_lshl_add_u32 v25, v23, 3, v16
	v_mad_i32_i24 v26, v23, s0, v18
	v_add_f32_e32 v1, v19, v27
	ds_write_b64 v18, v[2:3]
	ds_write2_b64 v18, v[10:11], v[8:9] offset0:1 offset1:2
	ds_write2_b64 v18, v[4:5], v[6:7] offset0:3 offset1:4
	;; [unrolled: 1-line block ×3, first 2 shown]
	s_waitcnt lgkmcnt(0)
	s_barrier
	ds_read_b64 v[20:21], v25
	ds_read2_b64 v[4:7], v26 offset0:49 offset1:98
	ds_read2_b64 v[8:11], v26 offset0:147 offset1:196
	v_cmp_gt_u32_e64 s[0:1], 14, v23
	v_lshlrev_b32_e32 v27, 3, v24
	v_lshlrev_b32_e32 v28, 3, v17
                                        ; implicit-def: $vgpr19
                                        ; implicit-def: $vgpr17
                                        ; implicit-def: $vgpr3
	s_and_saveexec_b64 s[4:5], s[0:1]
	s_cbranch_execz .LBB0_14
; %bb.13:
	v_add3_u32 v14, 0, v27, v28
	v_add_u32_e32 v15, 0x400, v26
	ds_read2_b64 v[0:3], v26 offset0:84 offset1:133
	ds_read2_b32 v[16:17], v15 offset0:108 offset1:109
	ds_read_b64 v[14:15], v14
	ds_read_b64 v[18:19], v26 offset:1848
.LBB0_14:
	s_or_b64 exec, exec, s[4:5]
	v_mov_b32_e32 v29, 37
	v_mul_lo_u16_sdwa v30, v23, v29 dst_sel:DWORD dst_unused:UNUSED_PAD src0_sel:BYTE_0 src1_sel:DWORD
	v_sub_u16_sdwa v31, v23, v30 dst_sel:DWORD dst_unused:UNUSED_PAD src0_sel:DWORD src1_sel:BYTE_1
	v_lshrrev_b16_e32 v31, 1, v31
	v_and_b32_e32 v31, 0x7f, v31
	v_add_u16_sdwa v30, v31, v30 dst_sel:DWORD dst_unused:UNUSED_PAD src0_sel:DWORD src1_sel:BYTE_1
	v_lshrrev_b16_e32 v40, 2, v30
	v_mul_lo_u16_e32 v30, 7, v40
	v_sub_u16_e32 v41, v23, v30
	v_mov_b32_e32 v30, 5
	v_lshlrev_b32_sdwa v31, v30, v41 dst_sel:DWORD dst_unused:UNUSED_PAD src0_sel:DWORD src1_sel:BYTE_0
	global_load_dwordx4 v[32:35], v31, s[8:9]
	global_load_dwordx4 v[36:39], v31, s[8:9] offset:16
	s_movk_i32 s6, 0x118
	v_mov_b32_e32 v31, 3
	v_mad_u32_u24 v40, v40, s6, 0
	v_lshlrev_b32_sdwa v41, v31, v41 dst_sel:DWORD dst_unused:UNUSED_PAD src0_sel:DWORD src1_sel:BYTE_0
	v_add3_u32 v40, v40, v41, v28
	s_waitcnt vmcnt(0) lgkmcnt(0)
	s_barrier
	v_mul_f32_e32 v41, v33, v5
	v_mul_f32_e32 v33, v33, v4
	;; [unrolled: 1-line block ×8, first 2 shown]
	v_fmac_f32_e32 v41, v32, v4
	v_fma_f32 v4, v32, v5, -v33
	v_fmac_f32_e32 v42, v34, v6
	v_fma_f32 v5, v34, v7, -v35
	;; [unrolled: 2-line block ×4, first 2 shown]
	v_add_f32_e32 v6, v20, v41
	v_add_f32_e32 v8, v42, v43
	v_sub_f32_e32 v9, v41, v42
	v_sub_f32_e32 v10, v44, v43
	v_add_f32_e32 v37, v21, v4
	v_add_f32_e32 v38, v5, v7
	v_sub_f32_e32 v32, v4, v11
	v_sub_f32_e32 v33, v5, v7
	v_add_f32_e32 v34, v41, v44
	v_sub_f32_e32 v35, v42, v41
	v_sub_f32_e32 v39, v41, v44
	;; [unrolled: 1-line block ×4, first 2 shown]
	v_add_f32_e32 v47, v4, v11
	v_sub_f32_e32 v48, v5, v4
	v_add_f32_e32 v6, v6, v42
	v_add_f32_e32 v42, v9, v10
	v_fma_f32 v4, -0.5, v8, v20
	v_add_f32_e32 v9, v37, v5
	v_fma_f32 v5, -0.5, v38, v21
	v_sub_f32_e32 v46, v11, v7
	v_sub_f32_e32 v49, v7, v11
	v_fma_f32 v20, -0.5, v34, v20
	v_fmac_f32_e32 v21, -0.5, v47
	v_add_f32_e32 v10, v6, v43
	v_mov_b32_e32 v6, v4
	v_add_f32_e32 v37, v9, v7
	v_mov_b32_e32 v7, v5
	v_sub_f32_e32 v36, v43, v44
	v_mov_b32_e32 v8, v20
	v_mov_b32_e32 v9, v21
	v_fmac_f32_e32 v6, 0xbf737871, v32
	v_fmac_f32_e32 v7, 0x3f737871, v39
	v_add_f32_e32 v34, v35, v36
	v_add_f32_e32 v35, v45, v46
	v_fmac_f32_e32 v4, 0x3f737871, v32
	v_fmac_f32_e32 v20, 0xbf737871, v33
	;; [unrolled: 1-line block ×8, first 2 shown]
	v_add_f32_e32 v36, v48, v49
	v_add_f32_e32 v10, v10, v44
	v_fmac_f32_e32 v4, 0x3f167918, v33
	v_fmac_f32_e32 v20, 0x3f167918, v32
	v_add_f32_e32 v11, v37, v11
	v_fmac_f32_e32 v5, 0xbf167918, v41
	v_fmac_f32_e32 v21, 0xbf167918, v39
	;; [unrolled: 1-line block ×12, first 2 shown]
	ds_write2_b64 v40, v[10:11], v[6:7] offset1:7
	ds_write2_b64 v40, v[8:9], v[20:21] offset0:14 offset1:21
	ds_write_b64 v40, v[4:5] offset:224
	s_and_saveexec_b64 s[4:5], s[0:1]
	s_cbranch_execz .LBB0_16
; %bb.15:
	v_mul_lo_u16_sdwa v4, v24, v29 dst_sel:DWORD dst_unused:UNUSED_PAD src0_sel:BYTE_0 src1_sel:DWORD
	v_sub_u16_sdwa v5, v24, v4 dst_sel:DWORD dst_unused:UNUSED_PAD src0_sel:DWORD src1_sel:BYTE_1
	v_lshrrev_b16_e32 v5, 1, v5
	v_and_b32_e32 v5, 0x7f, v5
	v_add_u16_sdwa v4, v5, v4 dst_sel:DWORD dst_unused:UNUSED_PAD src0_sel:DWORD src1_sel:BYTE_1
	v_lshrrev_b16_e32 v20, 2, v4
	v_mul_lo_u16_e32 v4, 7, v20
	v_sub_u16_e32 v21, v24, v4
	v_lshlrev_b32_sdwa v24, v30, v21 dst_sel:DWORD dst_unused:UNUSED_PAD src0_sel:DWORD src1_sel:BYTE_0
	global_load_dwordx4 v[4:7], v24, s[8:9]
	global_load_dwordx4 v[8:11], v24, s[8:9] offset:16
	v_mad_u32_u24 v20, v20, s6, 0
	v_lshlrev_b32_sdwa v21, v31, v21 dst_sel:DWORD dst_unused:UNUSED_PAD src0_sel:DWORD src1_sel:BYTE_0
	v_add3_u32 v20, v20, v21, v28
	s_waitcnt vmcnt(1)
	v_mul_f32_e32 v21, v2, v7
	v_mul_f32_e32 v24, v0, v5
	s_waitcnt vmcnt(0)
	v_mul_f32_e32 v29, v16, v9
	v_mul_f32_e32 v30, v18, v11
	;; [unrolled: 1-line block ×6, first 2 shown]
	v_fma_f32 v21, v3, v6, -v21
	v_fma_f32 v1, v1, v4, -v24
	v_fma_f32 v17, v17, v8, -v29
	v_fma_f32 v19, v19, v10, -v30
	v_fmac_f32_e32 v7, v2, v6
	v_fmac_f32_e32 v9, v16, v8
	;; [unrolled: 1-line block ×4, first 2 shown]
	v_sub_f32_e32 v0, v21, v1
	v_sub_f32_e32 v2, v17, v19
	v_add_f32_e32 v3, v1, v19
	v_sub_f32_e32 v4, v1, v21
	v_sub_f32_e32 v6, v19, v17
	v_add_f32_e32 v8, v21, v17
	v_add_f32_e32 v18, v15, v1
	;; [unrolled: 1-line block ×4, first 2 shown]
	v_sub_f32_e32 v16, v5, v11
	v_sub_f32_e32 v24, v7, v5
	;; [unrolled: 1-line block ×4, first 2 shown]
	v_add_f32_e32 v5, v14, v5
	v_add_f32_e32 v36, v0, v2
	v_fma_f32 v1, -0.5, v3, v15
	v_add_f32_e32 v37, v4, v6
	v_fma_f32 v3, -0.5, v8, v15
	v_add_f32_e32 v4, v18, v21
	v_fma_f32 v0, -0.5, v31, v14
	v_fma_f32 v2, -0.5, v35, v14
	v_sub_f32_e32 v10, v7, v9
	v_sub_f32_e32 v32, v21, v17
	;; [unrolled: 1-line block ×3, first 2 shown]
	v_add_f32_e32 v8, v5, v7
	v_mov_b32_e32 v5, v1
	v_mov_b32_e32 v7, v3
	v_fmac_f32_e32 v3, 0x3f737871, v16
	v_add_f32_e32 v14, v4, v17
	v_mov_b32_e32 v4, v0
	v_mov_b32_e32 v6, v2
	v_fmac_f32_e32 v2, 0xbf737871, v30
	v_sub_f32_e32 v29, v9, v11
	v_add_f32_e32 v18, v33, v34
	v_fmac_f32_e32 v1, 0xbf737871, v10
	v_fmac_f32_e32 v0, 0x3f737871, v32
	v_add_f32_e32 v8, v8, v9
	v_fmac_f32_e32 v5, 0x3f737871, v10
	v_fmac_f32_e32 v7, 0xbf737871, v16
	;; [unrolled: 1-line block ×6, first 2 shown]
	v_add_f32_e32 v15, v24, v29
	v_fmac_f32_e32 v1, 0x3f167918, v16
	v_add_f32_e32 v9, v14, v19
	v_fmac_f32_e32 v0, 0xbf167918, v30
	;; [unrolled: 2-line block ×3, first 2 shown]
	v_fmac_f32_e32 v7, 0xbf167918, v10
	v_fmac_f32_e32 v3, 0x3e9e377a, v37
	;; [unrolled: 1-line block ×11, first 2 shown]
	ds_write2_b64 v20, v[8:9], v[2:3] offset1:7
	ds_write2_b64 v20, v[0:1], v[4:5] offset0:14 offset1:21
	ds_write_b64 v20, v[6:7] offset:224
.LBB0_16:
	s_or_b64 exec, exec, s[4:5]
	s_waitcnt lgkmcnt(0)
	s_barrier
	s_and_saveexec_b64 s[0:1], vcc
	s_cbranch_execz .LBB0_18
; %bb.17:
	v_mul_u32_u24_e32 v0, 6, v23
	v_lshlrev_b32_e32 v14, 3, v0
	global_load_dwordx4 v[0:3], v14, s[8:9] offset:224
	global_load_dwordx4 v[4:7], v14, s[8:9] offset:256
	;; [unrolled: 1-line block ×3, first 2 shown]
	v_add3_u32 v18, 0, v27, v28
	ds_read2_b64 v[14:17], v26 offset0:140 offset1:175
	ds_read_b64 v[23:24], v18
	ds_read_b64 v[27:28], v26 offset:1680
	ds_read2_b64 v[18:21], v26 offset0:70 offset1:105
	ds_read_b64 v[25:26], v25
	s_mov_b32 s1, 0x3eae86e6
	s_mov_b32 s0, 0xbf5ff5aa
	;; [unrolled: 1-line block ×3, first 2 shown]
	s_waitcnt vmcnt(2) lgkmcnt(3)
	v_mul_f32_e32 v29, v1, v24
	s_waitcnt vmcnt(1) lgkmcnt(2)
	v_mul_f32_e32 v30, v7, v28
	s_waitcnt vmcnt(0)
	v_mul_f32_e32 v31, v11, v15
	s_waitcnt lgkmcnt(1)
	v_mul_f32_e32 v32, v9, v21
	v_mul_f32_e32 v33, v3, v19
	;; [unrolled: 1-line block ×9, first 2 shown]
	v_fmac_f32_e32 v29, v0, v23
	v_fmac_f32_e32 v30, v6, v27
	;; [unrolled: 1-line block ×6, first 2 shown]
	v_fma_f32 v6, v6, v28, -v7
	v_fma_f32 v0, v0, v24, -v1
	;; [unrolled: 1-line block ×6, first 2 shown]
	v_sub_f32_e32 v5, v31, v32
	v_sub_f32_e32 v8, v33, v34
	v_add_f32_e32 v9, v0, v6
	v_add_f32_e32 v11, v2, v4
	;; [unrolled: 1-line block ×5, first 2 shown]
	v_sub_f32_e32 v6, v0, v6
	v_sub_f32_e32 v0, v7, v1
	;; [unrolled: 1-line block ×4, first 2 shown]
	v_add_f32_e32 v10, v7, v1
	v_sub_f32_e32 v1, v5, v8
	v_add_f32_e32 v2, v5, v8
	v_add_f32_e32 v18, v9, v11
	v_sub_f32_e32 v20, v15, v16
	v_add_f32_e32 v21, v14, v16
	v_sub_f32_e32 v23, v6, v0
	v_sub_f32_e32 v24, v0, v4
	v_add_f32_e32 v0, v0, v4
	v_sub_f32_e32 v7, v3, v5
	v_sub_f32_e32 v19, v14, v15
	;; [unrolled: 1-line block ×3, first 2 shown]
	v_mul_f32_e32 v27, 0x3f08b237, v1
	v_add_f32_e32 v28, v3, v2
	v_add_f32_e32 v2, v10, v18
	v_mul_f32_e32 v18, 0x3d64c772, v20
	v_add_f32_e32 v3, v15, v21
	v_mul_f32_e32 v15, 0x3f08b237, v24
	v_add_f32_e32 v20, v6, v0
	v_sub_f32_e32 v6, v4, v6
	v_sub_f32_e32 v17, v10, v11
	v_mul_f32_e32 v21, 0xbf5ff5aa, v8
	v_mov_b32_e32 v24, v27
	s_waitcnt lgkmcnt(0)
	v_add_f32_e32 v1, v2, v26
	v_mov_b32_e32 v26, v18
	v_add_f32_e32 v0, v3, v25
	v_mov_b32_e32 v25, v15
	v_mul_f32_e32 v4, 0xbf5ff5aa, v6
	v_sub_f32_e32 v5, v9, v10
	v_mul_f32_e32 v17, 0x3d64c772, v17
	v_mul_f32_e32 v10, 0x3f4a47b2, v19
	v_fmac_f32_e32 v24, 0xbeae86e6, v7
	v_fmac_f32_e32 v26, 0x3f4a47b2, v19
	v_mov_b32_e32 v19, v0
	v_fmac_f32_e32 v25, 0xbeae86e6, v23
	v_fma_f32 v21, v7, s1, -v21
	v_sub_f32_e32 v7, v11, v9
	v_sub_f32_e32 v9, v16, v14
	v_fma_f32 v23, v23, s1, -v4
	s_mov_b32 s1, 0x3f3bfb3b
	v_mul_f32_e32 v29, 0x3f4a47b2, v5
	v_mov_b32_e32 v30, v17
	v_fmac_f32_e32 v19, 0xbf955555, v3
	v_fma_f32 v11, v8, s0, -v27
	v_fma_f32 v8, v9, s1, -v18
	v_fmac_f32_e32 v30, 0x3f4a47b2, v5
	v_mov_b32_e32 v31, v1
	v_fma_f32 v5, v7, s4, -v29
	v_fma_f32 v10, v9, s4, -v10
	;; [unrolled: 1-line block ×3, first 2 shown]
	v_add_f32_e32 v16, v8, v19
	v_fma_f32 v15, v6, s0, -v15
	v_mad_u64_u32 v[8:9], s[0:1], s2, v22, 0
	v_fmac_f32_e32 v31, 0xbf955555, v2
	v_add_f32_e32 v14, v10, v19
	v_add_f32_e32 v10, v7, v31
	v_fmac_f32_e32 v11, 0xbee1c552, v28
	v_fmac_f32_e32 v15, 0xbee1c552, v20
	v_sub_f32_e32 v7, v10, v11
	v_add_f32_e32 v11, v11, v10
	v_sub_f32_e32 v10, v16, v15
	v_add_f32_e32 v6, v15, v16
	v_mad_u64_u32 v[16:17], s[0:1], s3, v22, v[9:10]
	v_fmac_f32_e32 v23, 0xbee1c552, v20
	v_fmac_f32_e32 v24, 0xbee1c552, v28
	v_add_f32_e32 v30, v30, v31
	v_sub_f32_e32 v4, v14, v23
	v_add_f32_e32 v14, v23, v14
	v_mov_b32_e32 v9, v16
	v_mov_b32_e32 v16, s13
	v_add_co_u32_e32 v23, vcc, s12, v12
	v_add_f32_e32 v3, v24, v30
	v_sub_f32_e32 v18, v30, v24
	v_addc_co_u32_e32 v24, vcc, v16, v13, vcc
	v_add_u32_e32 v16, 35, v22
	v_mad_u64_u32 v[12:13], s[0:1], s2, v16, 0
	v_fmac_f32_e32 v25, 0xbee1c552, v20
	v_add_f32_e32 v26, v26, v19
	v_fmac_f32_e32 v21, 0xbee1c552, v28
	v_add_f32_e32 v29, v5, v31
	v_mad_u64_u32 v[19:20], s[0:1], s3, v16, v[13:14]
	v_add_u32_e32 v16, 0x46, v22
	v_add_f32_e32 v5, v21, v29
	v_sub_f32_e32 v15, v29, v21
	v_lshlrev_b64 v[8:9], 3, v[8:9]
	v_mad_u64_u32 v[20:21], s[0:1], s2, v16, 0
	v_add_co_u32_e32 v8, vcc, v23, v8
	v_addc_co_u32_e32 v9, vcc, v24, v9, vcc
	global_store_dwordx2 v[8:9], v[0:1], off
	v_mov_b32_e32 v8, v21
	v_mad_u64_u32 v[8:9], s[0:1], s3, v16, v[8:9]
	v_mov_b32_e32 v13, v19
	v_lshlrev_b64 v[0:1], 3, v[12:13]
	v_add_u32_e32 v12, 0x69, v22
	v_mov_b32_e32 v21, v8
	v_mad_u64_u32 v[8:9], s[0:1], s2, v12, 0
	v_add_co_u32_e32 v0, vcc, v23, v0
	v_mad_u64_u32 v[12:13], s[0:1], s3, v12, v[9:10]
	v_add_f32_e32 v17, v25, v26
	v_addc_co_u32_e32 v1, vcc, v24, v1, vcc
	v_add_u32_e32 v13, 0x8c, v22
	global_store_dwordx2 v[0:1], v[17:18], off
	v_lshlrev_b64 v[0:1], 3, v[20:21]
	v_mad_u64_u32 v[16:17], s[0:1], s2, v13, 0
	v_add_co_u32_e32 v0, vcc, v23, v0
	v_addc_co_u32_e32 v1, vcc, v24, v1, vcc
	v_mov_b32_e32 v9, v12
	global_store_dwordx2 v[0:1], v[14:15], off
	v_lshlrev_b64 v[0:1], 3, v[8:9]
	v_mov_b32_e32 v8, v17
	v_mad_u64_u32 v[8:9], s[0:1], s3, v13, v[8:9]
	v_add_co_u32_e32 v0, vcc, v23, v0
	v_addc_co_u32_e32 v1, vcc, v24, v1, vcc
	global_store_dwordx2 v[0:1], v[10:11], off
	v_add_u32_e32 v10, 0xaf, v22
	v_mov_b32_e32 v17, v8
	v_mad_u64_u32 v[8:9], s[0:1], s2, v10, 0
	v_add_u32_e32 v12, 0xd2, v22
	v_lshlrev_b64 v[0:1], 3, v[16:17]
	v_mad_u64_u32 v[9:10], s[0:1], s3, v10, v[9:10]
	v_mad_u64_u32 v[10:11], s[0:1], s2, v12, 0
	v_add_co_u32_e32 v0, vcc, v23, v0
	v_addc_co_u32_e32 v1, vcc, v24, v1, vcc
	global_store_dwordx2 v[0:1], v[6:7], off
	v_mov_b32_e32 v6, v11
	v_mad_u64_u32 v[6:7], s[0:1], s3, v12, v[6:7]
	v_lshlrev_b64 v[0:1], 3, v[8:9]
	v_sub_f32_e32 v2, v26, v25
	v_add_co_u32_e32 v0, vcc, v23, v0
	v_addc_co_u32_e32 v1, vcc, v24, v1, vcc
	v_mov_b32_e32 v11, v6
	global_store_dwordx2 v[0:1], v[4:5], off
	v_lshlrev_b64 v[0:1], 3, v[10:11]
	v_add_co_u32_e32 v0, vcc, v23, v0
	v_addc_co_u32_e32 v1, vcc, v24, v1, vcc
	global_store_dwordx2 v[0:1], v[2:3], off
.LBB0_18:
	s_endpgm
	.section	.rodata,"a",@progbits
	.p2align	6, 0x0
	.amdhsa_kernel fft_rtc_back_len245_factors_7_5_7_wgs_245_tpt_35_sp_ip_CI_sbrr_dirReg
		.amdhsa_group_segment_fixed_size 0
		.amdhsa_private_segment_fixed_size 0
		.amdhsa_kernarg_size 88
		.amdhsa_user_sgpr_count 6
		.amdhsa_user_sgpr_private_segment_buffer 1
		.amdhsa_user_sgpr_dispatch_ptr 0
		.amdhsa_user_sgpr_queue_ptr 0
		.amdhsa_user_sgpr_kernarg_segment_ptr 1
		.amdhsa_user_sgpr_dispatch_id 0
		.amdhsa_user_sgpr_flat_scratch_init 0
		.amdhsa_user_sgpr_private_segment_size 0
		.amdhsa_uses_dynamic_stack 0
		.amdhsa_system_sgpr_private_segment_wavefront_offset 0
		.amdhsa_system_sgpr_workgroup_id_x 1
		.amdhsa_system_sgpr_workgroup_id_y 0
		.amdhsa_system_sgpr_workgroup_id_z 0
		.amdhsa_system_sgpr_workgroup_info 0
		.amdhsa_system_vgpr_workitem_id 0
		.amdhsa_next_free_vgpr 50
		.amdhsa_next_free_sgpr 24
		.amdhsa_reserve_vcc 1
		.amdhsa_reserve_flat_scratch 0
		.amdhsa_float_round_mode_32 0
		.amdhsa_float_round_mode_16_64 0
		.amdhsa_float_denorm_mode_32 3
		.amdhsa_float_denorm_mode_16_64 3
		.amdhsa_dx10_clamp 1
		.amdhsa_ieee_mode 1
		.amdhsa_fp16_overflow 0
		.amdhsa_exception_fp_ieee_invalid_op 0
		.amdhsa_exception_fp_denorm_src 0
		.amdhsa_exception_fp_ieee_div_zero 0
		.amdhsa_exception_fp_ieee_overflow 0
		.amdhsa_exception_fp_ieee_underflow 0
		.amdhsa_exception_fp_ieee_inexact 0
		.amdhsa_exception_int_div_zero 0
	.end_amdhsa_kernel
	.text
.Lfunc_end0:
	.size	fft_rtc_back_len245_factors_7_5_7_wgs_245_tpt_35_sp_ip_CI_sbrr_dirReg, .Lfunc_end0-fft_rtc_back_len245_factors_7_5_7_wgs_245_tpt_35_sp_ip_CI_sbrr_dirReg
                                        ; -- End function
	.section	.AMDGPU.csdata,"",@progbits
; Kernel info:
; codeLenInByte = 4604
; NumSgprs: 28
; NumVgprs: 50
; ScratchSize: 0
; MemoryBound: 0
; FloatMode: 240
; IeeeMode: 1
; LDSByteSize: 0 bytes/workgroup (compile time only)
; SGPRBlocks: 3
; VGPRBlocks: 12
; NumSGPRsForWavesPerEU: 28
; NumVGPRsForWavesPerEU: 50
; Occupancy: 4
; WaveLimiterHint : 1
; COMPUTE_PGM_RSRC2:SCRATCH_EN: 0
; COMPUTE_PGM_RSRC2:USER_SGPR: 6
; COMPUTE_PGM_RSRC2:TRAP_HANDLER: 0
; COMPUTE_PGM_RSRC2:TGID_X_EN: 1
; COMPUTE_PGM_RSRC2:TGID_Y_EN: 0
; COMPUTE_PGM_RSRC2:TGID_Z_EN: 0
; COMPUTE_PGM_RSRC2:TIDIG_COMP_CNT: 0
	.type	__hip_cuid_e74031f2a61cf689,@object ; @__hip_cuid_e74031f2a61cf689
	.section	.bss,"aw",@nobits
	.globl	__hip_cuid_e74031f2a61cf689
__hip_cuid_e74031f2a61cf689:
	.byte	0                               ; 0x0
	.size	__hip_cuid_e74031f2a61cf689, 1

	.ident	"AMD clang version 19.0.0git (https://github.com/RadeonOpenCompute/llvm-project roc-6.4.0 25133 c7fe45cf4b819c5991fe208aaa96edf142730f1d)"
	.section	".note.GNU-stack","",@progbits
	.addrsig
	.addrsig_sym __hip_cuid_e74031f2a61cf689
	.amdgpu_metadata
---
amdhsa.kernels:
  - .args:
      - .actual_access:  read_only
        .address_space:  global
        .offset:         0
        .size:           8
        .value_kind:     global_buffer
      - .offset:         8
        .size:           8
        .value_kind:     by_value
      - .actual_access:  read_only
        .address_space:  global
        .offset:         16
        .size:           8
        .value_kind:     global_buffer
      - .actual_access:  read_only
        .address_space:  global
        .offset:         24
        .size:           8
        .value_kind:     global_buffer
      - .offset:         32
        .size:           8
        .value_kind:     by_value
      - .actual_access:  read_only
        .address_space:  global
        .offset:         40
        .size:           8
        .value_kind:     global_buffer
      - .actual_access:  read_only
        .address_space:  global
        .offset:         48
        .size:           8
        .value_kind:     global_buffer
      - .offset:         56
        .size:           4
        .value_kind:     by_value
      - .actual_access:  read_only
        .address_space:  global
        .offset:         64
        .size:           8
        .value_kind:     global_buffer
      - .actual_access:  read_only
        .address_space:  global
        .offset:         72
        .size:           8
        .value_kind:     global_buffer
      - .address_space:  global
        .offset:         80
        .size:           8
        .value_kind:     global_buffer
    .group_segment_fixed_size: 0
    .kernarg_segment_align: 8
    .kernarg_segment_size: 88
    .language:       OpenCL C
    .language_version:
      - 2
      - 0
    .max_flat_workgroup_size: 245
    .name:           fft_rtc_back_len245_factors_7_5_7_wgs_245_tpt_35_sp_ip_CI_sbrr_dirReg
    .private_segment_fixed_size: 0
    .sgpr_count:     28
    .sgpr_spill_count: 0
    .symbol:         fft_rtc_back_len245_factors_7_5_7_wgs_245_tpt_35_sp_ip_CI_sbrr_dirReg.kd
    .uniform_work_group_size: 1
    .uses_dynamic_stack: false
    .vgpr_count:     50
    .vgpr_spill_count: 0
    .wavefront_size: 64
amdhsa.target:   amdgcn-amd-amdhsa--gfx906
amdhsa.version:
  - 1
  - 2
...

	.end_amdgpu_metadata
